;; amdgpu-corpus repo=ROCm/rocFFT kind=compiled arch=gfx1030 opt=O3
	.text
	.amdgcn_target "amdgcn-amd-amdhsa--gfx1030"
	.amdhsa_code_object_version 6
	.protected	fft_rtc_fwd_len784_factors_2_2_2_2_7_7_wgs_56_tpt_56_halfLds_half_ip_CI_unitstride_sbrr_dirReg ; -- Begin function fft_rtc_fwd_len784_factors_2_2_2_2_7_7_wgs_56_tpt_56_halfLds_half_ip_CI_unitstride_sbrr_dirReg
	.globl	fft_rtc_fwd_len784_factors_2_2_2_2_7_7_wgs_56_tpt_56_halfLds_half_ip_CI_unitstride_sbrr_dirReg
	.p2align	8
	.type	fft_rtc_fwd_len784_factors_2_2_2_2_7_7_wgs_56_tpt_56_halfLds_half_ip_CI_unitstride_sbrr_dirReg,@function
fft_rtc_fwd_len784_factors_2_2_2_2_7_7_wgs_56_tpt_56_halfLds_half_ip_CI_unitstride_sbrr_dirReg: ; @fft_rtc_fwd_len784_factors_2_2_2_2_7_7_wgs_56_tpt_56_halfLds_half_ip_CI_unitstride_sbrr_dirReg
; %bb.0:
	s_clause 0x2
	s_load_dwordx4 s[8:11], s[4:5], 0x0
	s_load_dwordx2 s[2:3], s[4:5], 0x50
	s_load_dwordx2 s[12:13], s[4:5], 0x18
	v_mul_u32_u24_e32 v1, 0x493, v0
	v_mov_b32_e32 v3, 0
	v_add_nc_u32_sdwa v5, s6, v1 dst_sel:DWORD dst_unused:UNUSED_PAD src0_sel:DWORD src1_sel:WORD_1
	v_mov_b32_e32 v1, 0
	v_mov_b32_e32 v6, v3
	v_mov_b32_e32 v2, 0
	s_waitcnt lgkmcnt(0)
	v_cmp_lt_u64_e64 s0, s[10:11], 2
	s_and_b32 vcc_lo, exec_lo, s0
	s_cbranch_vccnz .LBB0_8
; %bb.1:
	s_load_dwordx2 s[0:1], s[4:5], 0x10
	v_mov_b32_e32 v1, 0
	s_add_u32 s6, s12, 8
	v_mov_b32_e32 v2, 0
	s_addc_u32 s7, s13, 0
	s_mov_b64 s[16:17], 1
	s_waitcnt lgkmcnt(0)
	s_add_u32 s14, s0, 8
	s_addc_u32 s15, s1, 0
.LBB0_2:                                ; =>This Inner Loop Header: Depth=1
	s_load_dwordx2 s[18:19], s[14:15], 0x0
                                        ; implicit-def: $vgpr7_vgpr8
	s_mov_b32 s0, exec_lo
	s_waitcnt lgkmcnt(0)
	v_or_b32_e32 v4, s19, v6
	v_cmpx_ne_u64_e32 0, v[3:4]
	s_xor_b32 s1, exec_lo, s0
	s_cbranch_execz .LBB0_4
; %bb.3:                                ;   in Loop: Header=BB0_2 Depth=1
	v_cvt_f32_u32_e32 v4, s18
	v_cvt_f32_u32_e32 v7, s19
	s_sub_u32 s0, 0, s18
	s_subb_u32 s20, 0, s19
	v_fmac_f32_e32 v4, 0x4f800000, v7
	v_rcp_f32_e32 v4, v4
	v_mul_f32_e32 v4, 0x5f7ffffc, v4
	v_mul_f32_e32 v7, 0x2f800000, v4
	v_trunc_f32_e32 v7, v7
	v_fmac_f32_e32 v4, 0xcf800000, v7
	v_cvt_u32_f32_e32 v7, v7
	v_cvt_u32_f32_e32 v4, v4
	v_mul_lo_u32 v8, s0, v7
	v_mul_hi_u32 v9, s0, v4
	v_mul_lo_u32 v10, s20, v4
	v_add_nc_u32_e32 v8, v9, v8
	v_mul_lo_u32 v9, s0, v4
	v_add_nc_u32_e32 v8, v8, v10
	v_mul_hi_u32 v10, v4, v9
	v_mul_lo_u32 v11, v4, v8
	v_mul_hi_u32 v12, v4, v8
	v_mul_hi_u32 v13, v7, v9
	v_mul_lo_u32 v9, v7, v9
	v_mul_hi_u32 v14, v7, v8
	v_mul_lo_u32 v8, v7, v8
	v_add_co_u32 v10, vcc_lo, v10, v11
	v_add_co_ci_u32_e32 v11, vcc_lo, 0, v12, vcc_lo
	v_add_co_u32 v9, vcc_lo, v10, v9
	v_add_co_ci_u32_e32 v9, vcc_lo, v11, v13, vcc_lo
	v_add_co_ci_u32_e32 v10, vcc_lo, 0, v14, vcc_lo
	v_add_co_u32 v8, vcc_lo, v9, v8
	v_add_co_ci_u32_e32 v9, vcc_lo, 0, v10, vcc_lo
	v_add_co_u32 v4, vcc_lo, v4, v8
	v_add_co_ci_u32_e32 v7, vcc_lo, v7, v9, vcc_lo
	v_mul_hi_u32 v8, s0, v4
	v_mul_lo_u32 v10, s20, v4
	v_mul_lo_u32 v9, s0, v7
	v_add_nc_u32_e32 v8, v8, v9
	v_mul_lo_u32 v9, s0, v4
	v_add_nc_u32_e32 v8, v8, v10
	v_mul_hi_u32 v10, v4, v9
	v_mul_lo_u32 v11, v4, v8
	v_mul_hi_u32 v12, v4, v8
	v_mul_hi_u32 v13, v7, v9
	v_mul_lo_u32 v9, v7, v9
	v_mul_hi_u32 v14, v7, v8
	v_mul_lo_u32 v8, v7, v8
	v_add_co_u32 v10, vcc_lo, v10, v11
	v_add_co_ci_u32_e32 v11, vcc_lo, 0, v12, vcc_lo
	v_add_co_u32 v9, vcc_lo, v10, v9
	v_add_co_ci_u32_e32 v9, vcc_lo, v11, v13, vcc_lo
	v_add_co_ci_u32_e32 v10, vcc_lo, 0, v14, vcc_lo
	v_add_co_u32 v8, vcc_lo, v9, v8
	v_add_co_ci_u32_e32 v9, vcc_lo, 0, v10, vcc_lo
	v_add_co_u32 v4, vcc_lo, v4, v8
	v_add_co_ci_u32_e32 v11, vcc_lo, v7, v9, vcc_lo
	v_mul_hi_u32 v13, v5, v4
	v_mad_u64_u32 v[9:10], null, v6, v4, 0
	v_mad_u64_u32 v[7:8], null, v5, v11, 0
	;; [unrolled: 1-line block ×3, first 2 shown]
	v_add_co_u32 v4, vcc_lo, v13, v7
	v_add_co_ci_u32_e32 v7, vcc_lo, 0, v8, vcc_lo
	v_add_co_u32 v4, vcc_lo, v4, v9
	v_add_co_ci_u32_e32 v4, vcc_lo, v7, v10, vcc_lo
	v_add_co_ci_u32_e32 v7, vcc_lo, 0, v12, vcc_lo
	v_add_co_u32 v4, vcc_lo, v4, v11
	v_add_co_ci_u32_e32 v9, vcc_lo, 0, v7, vcc_lo
	v_mul_lo_u32 v10, s19, v4
	v_mad_u64_u32 v[7:8], null, s18, v4, 0
	v_mul_lo_u32 v11, s18, v9
	v_sub_co_u32 v7, vcc_lo, v5, v7
	v_add3_u32 v8, v8, v11, v10
	v_sub_nc_u32_e32 v10, v6, v8
	v_subrev_co_ci_u32_e64 v10, s0, s19, v10, vcc_lo
	v_add_co_u32 v11, s0, v4, 2
	v_add_co_ci_u32_e64 v12, s0, 0, v9, s0
	v_sub_co_u32 v13, s0, v7, s18
	v_sub_co_ci_u32_e32 v8, vcc_lo, v6, v8, vcc_lo
	v_subrev_co_ci_u32_e64 v10, s0, 0, v10, s0
	v_cmp_le_u32_e32 vcc_lo, s18, v13
	v_cmp_eq_u32_e64 s0, s19, v8
	v_cndmask_b32_e64 v13, 0, -1, vcc_lo
	v_cmp_le_u32_e32 vcc_lo, s19, v10
	v_cndmask_b32_e64 v14, 0, -1, vcc_lo
	v_cmp_le_u32_e32 vcc_lo, s18, v7
	;; [unrolled: 2-line block ×3, first 2 shown]
	v_cndmask_b32_e64 v15, 0, -1, vcc_lo
	v_cmp_eq_u32_e32 vcc_lo, s19, v10
	v_cndmask_b32_e64 v7, v15, v7, s0
	v_cndmask_b32_e32 v10, v14, v13, vcc_lo
	v_add_co_u32 v13, vcc_lo, v4, 1
	v_add_co_ci_u32_e32 v14, vcc_lo, 0, v9, vcc_lo
	v_cmp_ne_u32_e32 vcc_lo, 0, v10
	v_cndmask_b32_e32 v8, v14, v12, vcc_lo
	v_cndmask_b32_e32 v10, v13, v11, vcc_lo
	v_cmp_ne_u32_e32 vcc_lo, 0, v7
	v_cndmask_b32_e32 v8, v9, v8, vcc_lo
	v_cndmask_b32_e32 v7, v4, v10, vcc_lo
.LBB0_4:                                ;   in Loop: Header=BB0_2 Depth=1
	s_andn2_saveexec_b32 s0, s1
	s_cbranch_execz .LBB0_6
; %bb.5:                                ;   in Loop: Header=BB0_2 Depth=1
	v_cvt_f32_u32_e32 v4, s18
	s_sub_i32 s1, 0, s18
	v_rcp_iflag_f32_e32 v4, v4
	v_mul_f32_e32 v4, 0x4f7ffffe, v4
	v_cvt_u32_f32_e32 v4, v4
	v_mul_lo_u32 v7, s1, v4
	v_mul_hi_u32 v7, v4, v7
	v_add_nc_u32_e32 v4, v4, v7
	v_mul_hi_u32 v4, v5, v4
	v_mul_lo_u32 v7, v4, s18
	v_add_nc_u32_e32 v8, 1, v4
	v_sub_nc_u32_e32 v7, v5, v7
	v_subrev_nc_u32_e32 v9, s18, v7
	v_cmp_le_u32_e32 vcc_lo, s18, v7
	v_cndmask_b32_e32 v7, v7, v9, vcc_lo
	v_cndmask_b32_e32 v4, v4, v8, vcc_lo
	v_cmp_le_u32_e32 vcc_lo, s18, v7
	v_add_nc_u32_e32 v8, 1, v4
	v_cndmask_b32_e32 v7, v4, v8, vcc_lo
	v_mov_b32_e32 v8, v3
.LBB0_6:                                ;   in Loop: Header=BB0_2 Depth=1
	s_or_b32 exec_lo, exec_lo, s0
	s_load_dwordx2 s[0:1], s[6:7], 0x0
	v_mul_lo_u32 v4, v8, s18
	v_mul_lo_u32 v11, v7, s19
	v_mad_u64_u32 v[9:10], null, v7, s18, 0
	s_add_u32 s16, s16, 1
	s_addc_u32 s17, s17, 0
	s_add_u32 s6, s6, 8
	s_addc_u32 s7, s7, 0
	;; [unrolled: 2-line block ×3, first 2 shown]
	v_add3_u32 v4, v10, v11, v4
	v_sub_co_u32 v5, vcc_lo, v5, v9
	v_sub_co_ci_u32_e32 v4, vcc_lo, v6, v4, vcc_lo
	s_waitcnt lgkmcnt(0)
	v_mul_lo_u32 v6, s1, v5
	v_mul_lo_u32 v4, s0, v4
	v_mad_u64_u32 v[1:2], null, s0, v5, v[1:2]
	v_cmp_ge_u64_e64 s0, s[16:17], s[10:11]
	s_and_b32 vcc_lo, exec_lo, s0
	v_add3_u32 v2, v6, v2, v4
	s_cbranch_vccnz .LBB0_9
; %bb.7:                                ;   in Loop: Header=BB0_2 Depth=1
	v_mov_b32_e32 v5, v7
	v_mov_b32_e32 v6, v8
	s_branch .LBB0_2
.LBB0_8:
	v_mov_b32_e32 v8, v6
	v_mov_b32_e32 v7, v5
.LBB0_9:
	s_lshl_b64 s[0:1], s[10:11], 3
	v_mul_hi_u32 v3, 0x4924925, v0
	s_add_u32 s0, s12, s0
	s_addc_u32 s1, s13, s1
	v_mov_b32_e32 v5, 0
	s_load_dwordx2 s[0:1], s[0:1], 0x0
	s_load_dwordx2 s[4:5], s[4:5], 0x20
	v_mov_b32_e32 v14, 0
	v_mov_b32_e32 v12, 0
	;; [unrolled: 1-line block ×3, first 2 shown]
	v_mul_u32_u24_e32 v3, 56, v3
                                        ; implicit-def: $vgpr22
                                        ; implicit-def: $vgpr18
                                        ; implicit-def: $vgpr23
                                        ; implicit-def: $vgpr15
                                        ; implicit-def: $vgpr21
                                        ; implicit-def: $vgpr13
                                        ; implicit-def: $vgpr20
                                        ; implicit-def: $vgpr10
                                        ; implicit-def: $vgpr19
                                        ; implicit-def: $vgpr11
                                        ; implicit-def: $vgpr16
                                        ; implicit-def: $vgpr17
	v_sub_nc_u32_e32 v0, v0, v3
	s_waitcnt lgkmcnt(0)
	v_mul_lo_u32 v4, s0, v8
	v_mul_lo_u32 v6, s1, v7
	v_mad_u64_u32 v[1:2], null, s0, v7, v[1:2]
	v_cmp_gt_u64_e32 vcc_lo, s[4:5], v[7:8]
                                        ; implicit-def: $vgpr7
                                        ; implicit-def: $vgpr8
	v_add3_u32 v2, v6, v2, v4
	v_mov_b32_e32 v6, 0
	v_mov_b32_e32 v4, 0
	v_lshlrev_b64 v[2:3], 2, v[1:2]
	v_mov_b32_e32 v1, 0
	s_and_saveexec_b32 s1, vcc_lo
	s_cbranch_execz .LBB0_11
; %bb.10:
	v_mov_b32_e32 v1, 0
	v_lshlrev_b64 v[4:5], 2, v[0:1]
	v_add_co_u32 v1, s0, s2, v2
	v_add_co_ci_u32_e64 v6, s0, s3, v3, s0
	v_add_co_u32 v16, s0, v1, v4
	v_add_co_ci_u32_e64 v17, s0, v6, v5, s0
	;; [unrolled: 2-line block ×3, first 2 shown]
	s_clause 0xd
	global_load_dword v18, v[16:17], off offset:1568
	global_load_dword v15, v[16:17], off offset:1792
	global_load_dword v13, v[16:17], off offset:2016
	global_load_dword v10, v[4:5], off offset:192
	global_load_dword v11, v[4:5], off offset:416
	global_load_dword v7, v[4:5], off offset:640
	global_load_dword v8, v[4:5], off offset:864
	global_load_dword v5, v[16:17], off
	global_load_dword v14, v[16:17], off offset:224
	global_load_dword v12, v[16:17], off offset:448
	;; [unrolled: 1-line block ×6, first 2 shown]
	s_waitcnt vmcnt(13)
	v_lshrrev_b32_e32 v22, 16, v18
	s_waitcnt vmcnt(12)
	v_lshrrev_b32_e32 v23, 16, v15
	;; [unrolled: 2-line block ×7, first 2 shown]
.LBB0_11:
	s_or_b32 exec_lo, exec_lo, s1
	s_waitcnt vmcnt(6)
	v_sub_f16_e32 v18, v5, v18
	s_waitcnt vmcnt(5)
	v_sub_f16_e32 v15, v14, v15
	;; [unrolled: 2-line block ×3, first 2 shown]
	v_sub_f16_e32 v13, v12, v13
	v_lshrrev_b32_e32 v24, 16, v5
	v_fma_f16 v5, v5, 2.0, -v18
	v_lshrrev_b32_e32 v25, 16, v14
	v_fma_f16 v14, v14, 2.0, -v15
	;; [unrolled: 2-line block ×3, first 2 shown]
	v_add_nc_u32_e32 v1, 56, v0
	v_lshrrev_b32_e32 v26, 16, v12
	v_fma_f16 v12, v12, 2.0, -v13
	v_add_nc_u32_e32 v32, 0x70, v0
	v_sub_f16_e32 v10, v9, v10
	v_sub_f16_e32 v11, v6, v11
	v_lshl_add_u32 v33, v0, 2, 0
	v_pack_b32_f16 v18, v5, v18
	s_waitcnt vmcnt(0)
	v_sub_f16_e32 v8, v4, v8
	v_lshl_add_u32 v34, v1, 2, 0
	v_pack_b32_f16 v14, v14, v15
	v_lshl_add_u32 v15, v32, 2, 0
	v_pack_b32_f16 v12, v12, v13
	v_sub_f16_e32 v22, v24, v22
	v_lshrrev_b32_e32 v27, 16, v9
	v_fma_f16 v9, v9, 2.0, -v10
	v_add_nc_u32_e32 v13, 0xa8, v0
	v_sub_f16_e32 v23, v25, v23
	v_lshrrev_b32_e32 v28, 16, v6
	v_fma_f16 v6, v6, 2.0, -v11
	ds_write_b32 v33, v18
	ds_write_b32 v34, v14
	;; [unrolled: 1-line block ×3, first 2 shown]
	v_add_nc_u32_e32 v12, 0xe0, v0
	v_sub_f16_e32 v21, v26, v21
	v_lshrrev_b32_e32 v30, 16, v4
	v_fma_f16 v4, v4, 2.0, -v8
	v_add_nc_u32_e32 v18, 0x118, v0
	v_add_nc_u32_e32 v35, 0x150, v0
	v_fma_f16 v24, v24, 2.0, -v22
	v_sub_f16_e32 v20, v27, v20
	v_lshlrev_b32_e32 v5, 1, v0
	v_lshl_add_u32 v14, v13, 2, 0
	v_pack_b32_f16 v9, v9, v10
	v_fma_f16 v25, v25, 2.0, -v23
	v_sub_f16_e32 v19, v28, v19
	v_lshl_add_u32 v10, v12, 2, 0
	v_pack_b32_f16 v6, v6, v11
	v_fma_f16 v26, v26, 2.0, -v21
	v_sub_f16_e32 v16, v29, v16
	v_lshl_add_u32 v11, v18, 2, 0
	v_pack_b32_f16 v7, v31, v7
	v_lshl_add_u32 v31, v35, 2, 0
	v_pack_b32_f16 v8, v4, v8
	v_fma_f16 v27, v27, 2.0, -v20
	v_sub_f16_e32 v17, v30, v17
	ds_write_b32 v14, v9
	ds_write_b32 v10, v6
	ds_write_b32 v11, v7
	v_sub_nc_u32_e32 v4, v33, v5
	v_pack_b32_f16 v6, v24, v22
	v_fma_f16 v28, v28, 2.0, -v19
	v_pack_b32_f16 v7, v25, v23
	v_fma_f16 v29, v29, 2.0, -v16
	ds_write_b32 v31, v8
	v_pack_b32_f16 v8, v26, v21
	v_fma_f16 v30, v30, 2.0, -v17
	s_waitcnt lgkmcnt(0)
	s_barrier
	buffer_gl0_inv
	ds_read_u16 v36, v4
	ds_read_u16 v37, v4 offset:112
	ds_read_u16 v38, v4 offset:224
	;; [unrolled: 1-line block ×13, first 2 shown]
	s_waitcnt lgkmcnt(0)
	s_barrier
	buffer_gl0_inv
	ds_write_b32 v33, v6
	ds_write_b32 v34, v7
	;; [unrolled: 1-line block ×3, first 2 shown]
	v_pack_b32_f16 v6, v27, v20
	v_and_b32_e32 v15, 1, v0
	v_pack_b32_f16 v7, v28, v19
	v_pack_b32_f16 v8, v29, v16
	;; [unrolled: 1-line block ×3, first 2 shown]
	ds_write_b32 v14, v6
	ds_write_b32 v10, v7
	;; [unrolled: 1-line block ×3, first 2 shown]
	v_lshlrev_b32_e32 v6, 2, v15
	v_lshlrev_b32_e32 v7, 1, v32
	ds_write_b32 v31, v9
	s_waitcnt lgkmcnt(0)
	s_barrier
	buffer_gl0_inv
	global_load_dword v14, v6, s[8:9]
	ds_read_u16 v22, v4 offset:784
	ds_read_u16 v23, v4 offset:896
	;; [unrolled: 1-line block ×3, first 2 shown]
	v_lshlrev_b32_e32 v11, 1, v35
	ds_read_u16 v25, v4 offset:1120
	ds_read_u16 v26, v4 offset:1232
	;; [unrolled: 1-line block ×4, first 2 shown]
	ds_read_u16 v29, v4
	ds_read_u16 v30, v4 offset:112
	ds_read_u16 v31, v4 offset:224
	;; [unrolled: 1-line block ×6, first 2 shown]
	v_lshlrev_b32_e32 v6, 1, v1
	v_and_b32_e32 v16, 3, v0
	v_lshlrev_b32_e32 v8, 1, v13
	v_and_or_b32 v13, 0x7c, v5, v15
	v_lshlrev_b32_e32 v9, 1, v12
	v_lshlrev_b32_e32 v10, 1, v18
	v_and_or_b32 v17, 0xfc, v6, v15
	v_and_or_b32 v18, 0x1fc, v7, v15
	v_lshlrev_b32_e32 v12, 2, v16
	v_lshl_add_u32 v13, v13, 1, 0
	v_and_or_b32 v19, 0x1fc, v8, v15
	v_and_or_b32 v20, 0x3fc, v9, v15
	;; [unrolled: 1-line block ×4, first 2 shown]
	v_lshl_add_u32 v17, v17, 1, 0
	v_lshl_add_u32 v18, v18, 1, 0
	;; [unrolled: 1-line block ×6, first 2 shown]
	s_waitcnt vmcnt(0) lgkmcnt(0)
	s_barrier
	buffer_gl0_inv
	v_mul_f16_sdwa v51, v42, v14 dst_sel:DWORD dst_unused:UNUSED_PAD src0_sel:DWORD src1_sel:WORD_1
	v_mul_f16_sdwa v50, v22, v14 dst_sel:DWORD dst_unused:UNUSED_PAD src0_sel:DWORD src1_sel:WORD_1
	;; [unrolled: 1-line block ×11, first 2 shown]
	v_fmac_f16_e32 v51, v22, v14
	v_mul_f16_sdwa v22, v28, v14 dst_sel:DWORD dst_unused:UNUSED_PAD src0_sel:DWORD src1_sel:WORD_1
	v_fma_f16 v42, v42, v14, -v50
	v_mul_f16_sdwa v50, v48, v14 dst_sel:DWORD dst_unused:UNUSED_PAD src0_sel:DWORD src1_sel:WORD_1
	v_fma_f16 v44, v44, v14, -v52
	v_mul_f16_sdwa v52, v49, v14 dst_sel:DWORD dst_unused:UNUSED_PAD src0_sel:DWORD src1_sel:WORD_1
	v_fmac_f16_e32 v53, v23, v14
	v_fma_f16 v23, v45, v14, -v54
	v_fmac_f16_e32 v55, v24, v14
	v_fma_f16 v24, v46, v14, -v56
	;; [unrolled: 2-line block ×4, first 2 shown]
	v_fma_f16 v22, v49, v14, -v22
	v_fmac_f16_e32 v50, v27, v14
	v_fmac_f16_e32 v52, v28, v14
	v_sub_f16_e32 v27, v29, v51
	v_sub_f16_e32 v14, v36, v42
	;; [unrolled: 1-line block ×14, first 2 shown]
	v_fma_f16 v29, v29, 2.0, -v27
	v_fma_f16 v36, v36, 2.0, -v14
	;; [unrolled: 1-line block ×14, first 2 shown]
	ds_write_b16 v13, v14 offset:4
	ds_write_b16 v13, v36
	ds_write_b16 v17, v37
	ds_write_b16 v17, v28 offset:4
	ds_write_b16 v18, v38
	ds_write_b16 v18, v23 offset:4
	;; [unrolled: 2-line block ×6, first 2 shown]
	s_waitcnt lgkmcnt(0)
	s_barrier
	buffer_gl0_inv
	ds_read_u16 v14, v4
	ds_read_u16 v22, v4 offset:112
	ds_read_u16 v23, v4 offset:224
	;; [unrolled: 1-line block ×13, first 2 shown]
	s_waitcnt lgkmcnt(0)
	s_barrier
	buffer_gl0_inv
	ds_write_b16 v13, v29
	ds_write_b16 v13, v27 offset:4
	ds_write_b16 v17, v30
	ds_write_b16 v17, v42 offset:4
	;; [unrolled: 2-line block ×7, first 2 shown]
	s_waitcnt lgkmcnt(0)
	s_barrier
	buffer_gl0_inv
	global_load_dword v12, v12, s[8:9] offset:8
	ds_read_u16 v29, v4 offset:784
	ds_read_u16 v30, v4 offset:896
	;; [unrolled: 1-line block ×7, first 2 shown]
	ds_read_u16 v42, v4
	ds_read_u16 v44, v4 offset:112
	ds_read_u16 v45, v4 offset:224
	;; [unrolled: 1-line block ×6, first 2 shown]
	v_and_b32_e32 v13, 7, v0
	v_and_or_b32 v15, 0x78, v5, v16
	v_and_or_b32 v18, 0xf8, v6, v16
	;; [unrolled: 1-line block ×4, first 2 shown]
	v_lshlrev_b32_e32 v17, 2, v13
	v_lshl_add_u32 v15, v15, 1, 0
	v_and_or_b32 v21, 0x3f8, v9, v16
	v_and_or_b32 v27, 0x2f8, v10, v16
	;; [unrolled: 1-line block ×3, first 2 shown]
	v_lshl_add_u32 v18, v18, 1, 0
	v_lshl_add_u32 v19, v19, 1, 0
	;; [unrolled: 1-line block ×6, first 2 shown]
	s_waitcnt vmcnt(0) lgkmcnt(0)
	s_barrier
	buffer_gl0_inv
	v_and_or_b32 v5, 0x70, v5, v13
	v_and_or_b32 v6, 0xf0, v6, v13
	;; [unrolled: 1-line block ×7, first 2 shown]
	v_lshl_add_u32 v5, v5, 1, 0
	v_lshl_add_u32 v6, v6, 1, 0
	;; [unrolled: 1-line block ×7, first 2 shown]
	v_mul_f16_sdwa v51, v28, v12 dst_sel:DWORD dst_unused:UNUSED_PAD src0_sel:DWORD src1_sel:WORD_1
	v_mul_f16_sdwa v50, v29, v12 dst_sel:DWORD dst_unused:UNUSED_PAD src0_sel:DWORD src1_sel:WORD_1
	;; [unrolled: 1-line block ×11, first 2 shown]
	v_fmac_f16_e32 v51, v29, v12
	v_mul_f16_sdwa v29, v35, v12 dst_sel:DWORD dst_unused:UNUSED_PAD src0_sel:DWORD src1_sel:WORD_1
	v_fma_f16 v28, v28, v12, -v50
	v_mul_f16_sdwa v50, v41, v12 dst_sel:DWORD dst_unused:UNUSED_PAD src0_sel:DWORD src1_sel:WORD_1
	v_fma_f16 v37, v37, v12, -v52
	v_mul_f16_sdwa v52, v43, v12 dst_sel:DWORD dst_unused:UNUSED_PAD src0_sel:DWORD src1_sel:WORD_1
	v_fmac_f16_e32 v53, v30, v12
	v_fma_f16 v30, v38, v12, -v54
	v_fmac_f16_e32 v55, v31, v12
	v_fma_f16 v31, v39, v12, -v56
	;; [unrolled: 2-line block ×4, first 2 shown]
	v_fma_f16 v29, v43, v12, -v29
	v_fmac_f16_e32 v50, v34, v12
	v_fmac_f16_e32 v52, v35, v12
	v_sub_f16_e32 v12, v14, v28
	v_sub_f16_e32 v28, v42, v51
	;; [unrolled: 1-line block ×14, first 2 shown]
	v_fma_f16 v42, v42, 2.0, -v28
	v_fma_f16 v14, v14, 2.0, -v12
	;; [unrolled: 1-line block ×14, first 2 shown]
	ds_write_b16 v15, v12 offset:8
	ds_write_b16 v15, v14
	ds_write_b16 v18, v22
	ds_write_b16 v18, v34 offset:8
	ds_write_b16 v19, v23
	ds_write_b16 v19, v30 offset:8
	;; [unrolled: 2-line block ×6, first 2 shown]
	s_waitcnt lgkmcnt(0)
	s_barrier
	buffer_gl0_inv
	ds_read_u16 v12, v4
	ds_read_u16 v14, v4 offset:112
	ds_read_u16 v22, v4 offset:224
	;; [unrolled: 1-line block ×13, first 2 shown]
	s_waitcnt lgkmcnt(0)
	s_barrier
	buffer_gl0_inv
	ds_write_b16 v15, v42
	ds_write_b16 v15, v28 offset:8
	ds_write_b16 v18, v43
	ds_write_b16 v18, v35 offset:8
	;; [unrolled: 2-line block ×7, first 2 shown]
	s_waitcnt lgkmcnt(0)
	s_barrier
	buffer_gl0_inv
	global_load_dword v15, v17, s[8:9] offset:24
	v_and_b32_e32 v18, 15, v0
	ds_read_u16 v17, v4 offset:896
	ds_read_u16 v20, v4 offset:1008
	v_and_b32_e32 v19, 15, v1
	v_mul_u32_u24_e32 v16, 6, v18
	v_lshlrev_b32_e32 v13, 2, v16
	ds_read_u16 v16, v4 offset:784
	ds_read_u16 v21, v4 offset:1120
	;; [unrolled: 1-line block ×5, first 2 shown]
	ds_read_u16 v37, v4
	ds_read_u16 v38, v4 offset:112
	ds_read_u16 v39, v4 offset:224
	;; [unrolled: 1-line block ×6, first 2 shown]
	s_waitcnt vmcnt(0) lgkmcnt(0)
	s_barrier
	buffer_gl0_inv
	v_mul_f16_sdwa v44, v16, v15 dst_sel:DWORD dst_unused:UNUSED_PAD src0_sel:DWORD src1_sel:WORD_1
	v_mul_f16_sdwa v45, v26, v15 dst_sel:DWORD dst_unused:UNUSED_PAD src0_sel:DWORD src1_sel:WORD_1
	;; [unrolled: 1-line block ×14, first 2 shown]
	v_fma_f16 v26, v26, v15, -v44
	v_fmac_f16_e32 v45, v16, v15
	v_fma_f16 v16, v30, v15, -v46
	v_fmac_f16_e32 v47, v17, v15
	;; [unrolled: 2-line block ×7, first 2 shown]
	v_sub_f16_e32 v15, v12, v26
	v_sub_f16_e32 v26, v37, v45
	;; [unrolled: 1-line block ×14, first 2 shown]
	v_fma_f16 v36, v37, 2.0, -v26
	v_fma_f16 v12, v12, 2.0, -v15
	;; [unrolled: 1-line block ×14, first 2 shown]
	ds_write_b16 v5, v15 offset:16
	ds_write_b16 v5, v12
	ds_write_b16 v6, v14
	ds_write_b16 v6, v16 offset:16
	ds_write_b16 v7, v22
	ds_write_b16 v7, v17 offset:16
	;; [unrolled: 2-line block ×6, first 2 shown]
	s_waitcnt lgkmcnt(0)
	s_barrier
	buffer_gl0_inv
	ds_read_u16 v20, v4
	ds_read_u16 v21, v4 offset:896
	ds_read_u16 v22, v4 offset:784
	;; [unrolled: 1-line block ×13, first 2 shown]
	s_waitcnt lgkmcnt(0)
	s_barrier
	buffer_gl0_inv
	ds_write_b16 v5, v36
	ds_write_b16 v5, v26 offset:16
	ds_write_b16 v6, v37
	ds_write_b16 v6, v30 offset:16
	;; [unrolled: 2-line block ×7, first 2 shown]
	v_mul_u32_u24_e32 v5, 6, v19
	s_waitcnt lgkmcnt(0)
	s_barrier
	buffer_gl0_inv
	global_load_dwordx4 v[6:9], v13, s[8:9] offset:56
	v_lshlrev_b32_e32 v5, 2, v5
	s_clause 0x2
	global_load_dwordx2 v[14:15], v13, s[8:9] offset:72
	global_load_dwordx4 v[10:13], v5, s[8:9] offset:56
	global_load_dwordx2 v[16:17], v5, s[8:9] offset:72
	v_lshrrev_b32_e32 v26, 4, v0
	v_lshrrev_b32_e32 v5, 4, v1
	v_mul_u32_u24_e32 v26, 0x70, v26
	v_mul_u32_u24_e32 v30, 0x70, v5
	v_or_b32_e32 v18, v26, v18
	v_or_b32_e32 v19, v30, v19
	ds_read_u16 v26, v4 offset:224
	ds_read_u16 v30, v4 offset:448
	v_lshl_add_u32 v31, v18, 1, 0
	ds_read_u16 v18, v4 offset:672
	v_lshl_add_u32 v32, v19, 1, 0
	ds_read_u16 v19, v4 offset:896
	ds_read_u16 v33, v4
	ds_read_u16 v34, v4 offset:1120
	ds_read_u16 v35, v4 offset:1344
	;; [unrolled: 1-line block ×9, first 2 shown]
	s_waitcnt vmcnt(0) lgkmcnt(0)
	s_barrier
	buffer_gl0_inv
	v_mul_f16_sdwa v48, v26, v6 dst_sel:DWORD dst_unused:UNUSED_PAD src0_sel:DWORD src1_sel:WORD_1
	v_mul_f16_sdwa v49, v28, v6 dst_sel:DWORD dst_unused:UNUSED_PAD src0_sel:DWORD src1_sel:WORD_1
	;; [unrolled: 1-line block ×13, first 2 shown]
	v_fma_f16 v28, v28, v6, -v48
	v_mul_f16_sdwa v48, v27, v10 dst_sel:DWORD dst_unused:UNUSED_PAD src0_sel:DWORD src1_sel:WORD_1
	v_fmac_f16_e32 v49, v26, v6
	v_mul_f16_sdwa v6, v37, v11 dst_sel:DWORD dst_unused:UNUSED_PAD src0_sel:DWORD src1_sel:WORD_1
	v_fma_f16 v25, v25, v7, -v50
	v_mul_f16_sdwa v26, v24, v11 dst_sel:DWORD dst_unused:UNUSED_PAD src0_sel:DWORD src1_sel:WORD_1
	v_fma_f16 v23, v23, v8, -v52
	v_fmac_f16_e32 v53, v18, v8
	v_fma_f16 v18, v21, v9, -v54
	v_fmac_f16_e32 v55, v19, v9
	v_mul_f16_sdwa v9, v41, v16 dst_sel:DWORD dst_unused:UNUSED_PAD src0_sel:DWORD src1_sel:WORD_1
	v_mul_f16_sdwa v19, v45, v16 dst_sel:DWORD dst_unused:UNUSED_PAD src0_sel:DWORD src1_sel:WORD_1
	;; [unrolled: 1-line block ×4, first 2 shown]
	v_fmac_f16_e32 v51, v30, v7
	v_mul_f16_sdwa v7, v36, v12 dst_sel:DWORD dst_unused:UNUSED_PAD src0_sel:DWORD src1_sel:WORD_1
	v_mul_f16_sdwa v30, v22, v12 dst_sel:DWORD dst_unused:UNUSED_PAD src0_sel:DWORD src1_sel:WORD_1
	;; [unrolled: 1-line block ×4, first 2 shown]
	v_fma_f16 v46, v46, v14, -v56
	v_fmac_f16_e32 v57, v34, v14
	v_fma_f16 v14, v44, v15, -v58
	v_fmac_f16_e32 v59, v35, v15
	;; [unrolled: 2-line block ×8, first 2 shown]
	v_add_f16_e32 v11, v28, v14
	v_add_f16_e32 v16, v25, v46
	;; [unrolled: 1-line block ×3, first 2 shown]
	v_sub_f16_e32 v13, v28, v14
	v_sub_f16_e32 v14, v49, v59
	v_add_f16_e32 v17, v51, v57
	v_sub_f16_e32 v22, v25, v46
	v_sub_f16_e32 v24, v51, v57
	v_add_f16_e32 v25, v23, v18
	v_add_f16_e32 v27, v53, v55
	v_sub_f16_e32 v18, v18, v23
	v_sub_f16_e32 v23, v55, v53
	v_add_f16_e32 v28, v15, v10
	v_add_f16_e32 v34, v48, v52
	;; [unrolled: 1-line block ×4, first 2 shown]
	v_sub_f16_e32 v10, v15, v10
	v_sub_f16_e32 v6, v6, v9
	;; [unrolled: 1-line block ×3, first 2 shown]
	v_add_f16_e32 v19, v7, v8
	v_add_f16_e32 v26, v30, v21
	v_sub_f16_e32 v7, v8, v7
	v_sub_f16_e32 v8, v21, v30
	v_add_f16_e32 v21, v16, v11
	v_sub_f16_e32 v15, v48, v52
	v_add_f16_e32 v30, v17, v12
	v_sub_f16_e32 v37, v16, v11
	v_sub_f16_e32 v38, v17, v12
	;; [unrolled: 1-line block ×6, first 2 shown]
	v_add_f16_e32 v40, v18, v22
	v_add_f16_e32 v41, v23, v24
	v_sub_f16_e32 v42, v18, v22
	v_sub_f16_e32 v43, v23, v24
	;; [unrolled: 1-line block ×4, first 2 shown]
	v_add_f16_e32 v44, v35, v28
	v_add_f16_e32 v45, v36, v34
	;; [unrolled: 1-line block ×3, first 2 shown]
	v_sub_f16_e32 v50, v7, v6
	v_sub_f16_e32 v6, v6, v10
	v_add_f16_e32 v21, v25, v21
	v_sub_f16_e32 v18, v13, v18
	v_sub_f16_e32 v23, v14, v23
	;; [unrolled: 1-line block ×8, first 2 shown]
	v_add_f16_e32 v49, v8, v9
	v_sub_f16_e32 v51, v8, v9
	v_sub_f16_e32 v9, v9, v15
	v_add_f16_e32 v25, v27, v30
	v_add_f16_e32 v13, v40, v13
	;; [unrolled: 1-line block ×3, first 2 shown]
	v_mul_f16_e32 v11, 0x3a52, v11
	v_mul_f16_e32 v12, 0x3a52, v12
	;; [unrolled: 1-line block ×8, first 2 shown]
	v_add_f16_e32 v19, v19, v44
	v_add_f16_e32 v26, v26, v45
	v_sub_f16_e32 v7, v10, v7
	v_add_f16_e32 v10, v48, v10
	v_mul_f16_e32 v48, 0xb846, v50
	v_mul_f16_e32 v50, 0x3b00, v6
	v_add_f16_e32 v20, v20, v21
	v_sub_f16_e32 v8, v15, v8
	v_add_f16_e32 v15, v49, v15
	v_mul_f16_e32 v28, 0x3a52, v28
	v_mul_f16_e32 v34, 0x3a52, v34
	v_mul_f16_e32 v44, 0x2b26, v35
	v_mul_f16_e32 v45, 0x2b26, v36
	v_mul_f16_e32 v49, 0xb846, v51
	v_mul_f16_e32 v51, 0x3b00, v9
	v_add_f16_e32 v33, v33, v25
	v_fmamk_f16 v16, v16, 0x2b26, v11
	v_fmamk_f16 v17, v17, 0x2b26, v12
	v_fma_f16 v27, v37, 0x39e0, -v27
	v_fma_f16 v30, v38, 0x39e0, -v30
	;; [unrolled: 1-line block ×4, first 2 shown]
	v_fmamk_f16 v37, v18, 0x3574, v40
	v_fmamk_f16 v38, v23, 0x3574, v41
	v_fma_f16 v22, v22, 0x3b00, -v40
	v_fma_f16 v24, v24, 0x3b00, -v41
	v_fma_f16 v18, v18, 0xb574, -v42
	v_fma_f16 v23, v23, 0xb574, -v43
	v_add_f16_e32 v29, v29, v19
	v_add_f16_e32 v39, v39, v26
	v_fmamk_f16 v42, v7, 0x3574, v48
	v_fma_f16 v6, v6, 0x3b00, -v48
	v_fma_f16 v7, v7, 0xb574, -v50
	v_fmamk_f16 v21, v21, 0xbcab, v20
	v_fmamk_f16 v35, v35, 0x2b26, v28
	;; [unrolled: 1-line block ×3, first 2 shown]
	v_fma_f16 v40, v46, 0x39e0, -v44
	v_fma_f16 v41, v47, 0x39e0, -v45
	;; [unrolled: 1-line block ×4, first 2 shown]
	v_fmamk_f16 v43, v8, 0x3574, v49
	v_fma_f16 v9, v9, 0x3b00, -v49
	v_fma_f16 v8, v8, 0xb574, -v51
	v_fmamk_f16 v25, v25, 0xbcab, v33
	v_fmac_f16_e32 v37, 0x370e, v13
	v_fmac_f16_e32 v38, 0x370e, v14
	;; [unrolled: 1-line block ×6, first 2 shown]
	v_fmamk_f16 v13, v19, 0xbcab, v29
	v_fmamk_f16 v14, v26, 0xbcab, v39
	v_fmac_f16_e32 v42, 0x370e, v10
	v_fmac_f16_e32 v6, 0x370e, v10
	;; [unrolled: 1-line block ×3, first 2 shown]
	v_add_f16_e32 v10, v16, v21
	v_add_f16_e32 v11, v11, v21
	;; [unrolled: 1-line block ×3, first 2 shown]
	v_fmac_f16_e32 v43, 0x370e, v15
	v_fmac_f16_e32 v9, 0x370e, v15
	;; [unrolled: 1-line block ×3, first 2 shown]
	ds_write_b16 v31, v20
	v_add_f16_e32 v15, v17, v25
	v_add_f16_e32 v17, v30, v25
	;; [unrolled: 1-line block ×11, first 2 shown]
	v_sub_f16_e32 v34, v16, v24
	v_add_f16_e32 v16, v24, v16
	v_sub_f16_e32 v27, v15, v37
	v_sub_f16_e32 v30, v12, v18
	v_add_f16_e32 v35, v22, v17
	v_sub_f16_e32 v22, v17, v22
	;; [unrolled: 3-line block ×3, first 2 shown]
	v_add_f16_e32 v24, v37, v15
	v_add_f16_e32 v12, v43, v19
	;; [unrolled: 1-line block ×3, first 2 shown]
	v_sub_f16_e32 v37, v14, v7
	v_sub_f16_e32 v17, v21, v9
	v_add_f16_e32 v38, v6, v25
	v_add_f16_e32 v9, v9, v21
	v_sub_f16_e32 v21, v25, v6
	v_sub_f16_e32 v6, v13, v8
	v_add_f16_e32 v25, v7, v14
	v_sub_f16_e32 v7, v19, v43
	ds_write_b16 v31, v26 offset:32
	ds_write_b16 v31, v28 offset:64
	;; [unrolled: 1-line block ×6, first 2 shown]
	ds_write_b16 v32, v29
	ds_write_b16 v32, v12 offset:32
	ds_write_b16 v32, v15 offset:64
	ds_write_b16 v32, v17 offset:96
	ds_write_b16 v32, v9 offset:128
	ds_write_b16 v32, v6 offset:160
	ds_write_b16 v32, v7 offset:192
	s_waitcnt lgkmcnt(0)
	s_barrier
	buffer_gl0_inv
	ds_read_u16 v6, v4
	ds_read_u16 v10, v4 offset:896
	ds_read_u16 v8, v4 offset:784
	;; [unrolled: 1-line block ×13, first 2 shown]
	v_sub_f16_e32 v36, v20, v42
	v_add_f16_e32 v20, v42, v20
	s_waitcnt lgkmcnt(0)
	s_barrier
	buffer_gl0_inv
	ds_write_b16 v31, v33
	ds_write_b16 v31, v27 offset:32
	ds_write_b16 v31, v30 offset:64
	ds_write_b16 v31, v35 offset:96
	ds_write_b16 v31, v22 offset:128
	ds_write_b16 v31, v23 offset:160
	ds_write_b16 v31, v24 offset:192
	ds_write_b16 v32, v39
	ds_write_b16 v32, v36 offset:32
	ds_write_b16 v32, v37 offset:64
	;; [unrolled: 1-line block ×6, first 2 shown]
	s_waitcnt lgkmcnt(0)
	s_barrier
	buffer_gl0_inv
	s_and_saveexec_b32 s0, vcc_lo
	s_cbranch_execz .LBB0_13
; %bb.12:
	v_mul_u32_u24_e32 v1, 6, v1
	v_mul_u32_u24_e32 v24, 6, v0
	v_mul_hi_u32 v5, 0x24924925, v5
	v_add_co_u32 v2, vcc_lo, s2, v2
	v_lshlrev_b32_e32 v1, 2, v1
	v_add_co_ci_u32_e32 v3, vcc_lo, s3, v3, vcc_lo
	s_clause 0x1
	global_load_dwordx4 v[20:23], v1, s[8:9] offset:440
	global_load_dwordx2 v[28:29], v1, s[8:9] offset:456
	v_lshlrev_b32_e32 v1, 2, v24
	s_clause 0x1
	global_load_dwordx4 v[24:27], v1, s[8:9] offset:440
	global_load_dwordx2 v[30:31], v1, s[8:9] offset:456
	ds_read_u16 v34, v4 offset:784
	ds_read_u16 v35, v4 offset:672
	;; [unrolled: 1-line block ×13, first 2 shown]
	ds_read_u16 v47, v4
	v_mov_b32_e32 v1, 0
	v_lshlrev_b64 v[32:33], 2, v[0:1]
	v_mul_u32_u24_e32 v0, 0x2a0, v5
	v_add_co_u32 v2, vcc_lo, v2, v32
	v_lshlrev_b64 v[0:1], 2, v[0:1]
	v_add_co_ci_u32_e32 v3, vcc_lo, v3, v33, vcc_lo
	v_add_co_u32 v0, vcc_lo, v2, v0
	v_add_co_ci_u32_e32 v1, vcc_lo, v3, v1, vcc_lo
	v_add_co_u32 v4, vcc_lo, 0x800, v2
	;; [unrolled: 2-line block ×3, first 2 shown]
	v_add_co_ci_u32_e32 v33, vcc_lo, 0, v1, vcc_lo
	s_waitcnt vmcnt(3)
	v_lshrrev_b32_e32 v49, 16, v22
	s_waitcnt lgkmcnt(9)
	v_mul_f16_sdwa v51, v38, v20 dst_sel:DWORD dst_unused:UNUSED_PAD src0_sel:DWORD src1_sel:WORD_1
	v_mul_f16_sdwa v55, v19, v20 dst_sel:DWORD dst_unused:UNUSED_PAD src0_sel:DWORD src1_sel:WORD_1
	v_mul_f16_e32 v56, v22, v34
	v_lshrrev_b32_e32 v48, 16, v21
	v_lshrrev_b32_e32 v50, 16, v23
	s_waitcnt vmcnt(2)
	v_lshrrev_b32_e32 v52, 16, v28
	v_lshrrev_b32_e32 v53, 16, v29
	s_waitcnt lgkmcnt(7)
	v_mul_f16_e32 v54, v29, v40
	s_waitcnt lgkmcnt(3)
	v_mul_f16_e32 v57, v23, v44
	v_mul_f16_e32 v58, v28, v42
	;; [unrolled: 1-line block ×3, first 2 shown]
	v_fma_f16 v19, v19, v20, -v51
	s_waitcnt vmcnt(1)
	v_mul_f16_sdwa v51, v39, v24 dst_sel:DWORD dst_unused:UNUSED_PAD src0_sel:DWORD src1_sel:WORD_1
	v_fmac_f16_e32 v55, v20, v38
	v_mul_f16_e32 v34, v49, v34
	v_fmac_f16_e32 v56, v8, v49
	v_mul_f16_sdwa v38, v35, v26 dst_sel:DWORD dst_unused:UNUSED_PAD src0_sel:DWORD src1_sel:WORD_1
	v_mul_f16_sdwa v49, v37, v25 dst_sel:DWORD dst_unused:UNUSED_PAD src0_sel:DWORD src1_sel:WORD_1
	v_mul_f16_e32 v40, v53, v40
	v_fmac_f16_e32 v54, v12, v53
	s_waitcnt vmcnt(0)
	v_mul_f16_sdwa v53, v41, v31 dst_sel:DWORD dst_unused:UNUSED_PAD src0_sel:DWORD src1_sel:WORD_1
	s_waitcnt lgkmcnt(2)
	v_mul_f16_sdwa v20, v45, v27 dst_sel:DWORD dst_unused:UNUSED_PAD src0_sel:DWORD src1_sel:WORD_1
	v_mul_f16_e32 v44, v50, v44
	v_fmac_f16_e32 v57, v15, v50
	v_mul_f16_e32 v42, v52, v42
	v_fmac_f16_e32 v58, v11, v52
	v_mul_f16_sdwa v50, v43, v30 dst_sel:DWORD dst_unused:UNUSED_PAD src0_sel:DWORD src1_sel:WORD_1
	v_mul_f16_e32 v36, v48, v36
	v_fmac_f16_e32 v59, v9, v48
	v_mul_f16_sdwa v48, v18, v31 dst_sel:DWORD dst_unused:UNUSED_PAD src0_sel:DWORD src1_sel:WORD_1
	v_fma_f16 v51, v17, v24, -v51
	v_mul_f16_sdwa v17, v17, v24 dst_sel:DWORD dst_unused:UNUSED_PAD src0_sel:DWORD src1_sel:WORD_1
	v_mul_f16_sdwa v52, v14, v26 dst_sel:DWORD dst_unused:UNUSED_PAD src0_sel:DWORD src1_sel:WORD_1
	v_fma_f16 v14, v14, v26, -v38
	v_mul_f16_sdwa v38, v16, v30 dst_sel:DWORD dst_unused:UNUSED_PAD src0_sel:DWORD src1_sel:WORD_1
	v_fma_f16 v49, v13, v25, -v49
	;; [unrolled: 2-line block ×3, first 2 shown]
	v_fma_f16 v20, v10, v27, -v20
	v_mul_f16_sdwa v10, v10, v27 dst_sel:DWORD dst_unused:UNUSED_PAD src0_sel:DWORD src1_sel:WORD_1
	v_fma_f16 v16, v16, v30, -v50
	v_fmac_f16_e32 v48, v31, v41
	v_fmac_f16_e32 v17, v24, v39
	;; [unrolled: 1-line block ×6, first 2 shown]
	v_fma_f16 v12, v12, v29, -v40
	v_fma_f16 v15, v15, v23, -v44
	;; [unrolled: 1-line block ×5, first 2 shown]
	v_add_f16_e32 v21, v55, v54
	v_add_f16_e32 v22, v57, v56
	;; [unrolled: 1-line block ×3, first 2 shown]
	v_sub_f16_e32 v24, v55, v54
	v_sub_f16_e32 v25, v57, v56
	;; [unrolled: 1-line block ×5, first 2 shown]
	v_add_f16_e32 v30, v17, v48
	v_add_f16_e32 v34, v13, v38
	;; [unrolled: 1-line block ×4, first 2 shown]
	v_sub_f16_e32 v28, v20, v14
	v_add_f16_e32 v31, v10, v52
	v_add_f16_e32 v14, v20, v14
	v_sub_f16_e32 v17, v17, v48
	v_sub_f16_e32 v10, v10, v52
	v_sub_f16_e32 v13, v13, v38
	v_sub_f16_e32 v20, v19, v12
	v_sub_f16_e32 v35, v15, v8
	v_sub_f16_e32 v36, v9, v11
	v_sub_f16_e32 v37, v21, v22
	v_sub_f16_e32 v38, v22, v23
	v_add_f16_e32 v39, v21, v23
	v_add_f16_e32 v12, v19, v12
	;; [unrolled: 1-line block ×4, first 2 shown]
	v_sub_f16_e32 v15, v25, v26
	v_add_f16_e32 v19, v25, v26
	v_sub_f16_e32 v21, v23, v21
	v_sub_f16_e32 v23, v26, v24
	v_add_f16_e32 v42, v30, v34
	v_add_f16_e32 v45, v18, v16
	v_sub_f16_e32 v11, v24, v25
	v_sub_f16_e32 v25, v27, v28
	;; [unrolled: 1-line block ×3, first 2 shown]
	v_add_f16_e32 v28, v28, v29
	v_sub_f16_e32 v40, v30, v31
	v_sub_f16_e32 v41, v31, v34
	v_sub_f16_e32 v43, v18, v14
	v_sub_f16_e32 v44, v14, v16
	v_sub_f16_e32 v48, v17, v10
	v_sub_f16_e32 v49, v10, v13
	v_add_f16_e32 v10, v10, v13
	v_sub_f16_e32 v29, v29, v27
	v_sub_f16_e32 v30, v34, v30
	;; [unrolled: 1-line block ×6, first 2 shown]
	v_add_f16_e32 v35, v35, v36
	v_mul_f16_e32 v38, 0x2b26, v38
	v_add_f16_e32 v22, v22, v39
	v_sub_f16_e32 v39, v12, v8
	v_sub_f16_e32 v51, v8, v9
	v_add_f16_e32 v52, v12, v9
	v_mul_f16_e32 v15, 0xb846, v15
	v_add_f16_e32 v19, v24, v19
	v_sub_f16_e32 v24, v36, v20
	v_sub_f16_e32 v9, v9, v12
	v_mul_f16_e32 v12, 0x3b00, v23
	v_add_f16_e32 v31, v31, v42
	v_add_f16_e32 v14, v14, v45
	v_mul_f16_e32 v50, 0x3a52, v37
	v_mul_f16_e32 v26, 0xb846, v26
	v_add_f16_e32 v27, v27, v28
	v_mul_f16_e32 v28, 0x3a52, v40
	v_mul_f16_e32 v36, 0x2b26, v41
	;; [unrolled: 1-line block ×5, first 2 shown]
	v_add_f16_e32 v10, v17, v10
	v_mul_f16_e32 v17, 0x3b00, v29
	v_mul_f16_e32 v45, 0x3b00, v13
	;; [unrolled: 1-line block ×3, first 2 shown]
	v_add_f16_e32 v20, v20, v35
	v_fmamk_f16 v35, v37, 0x3a52, v38
	s_waitcnt lgkmcnt(1)
	v_add_f16_e32 v37, v46, v22
	v_mul_f16_e32 v49, 0x2b26, v51
	v_add_f16_e32 v8, v8, v52
	v_fmamk_f16 v51, v11, 0x3574, v15
	v_mul_f16_e32 v52, 0x3b00, v24
	v_fma_f16 v11, v11, 0xb574, -v12
	v_fma_f16 v12, v21, 0x39e0, -v38
	;; [unrolled: 1-line block ×3, first 2 shown]
	s_waitcnt lgkmcnt(0)
	v_add_f16_e32 v38, v47, v31
	v_add_f16_e32 v6, v6, v14
	v_mul_f16_e32 v46, 0x3a52, v39
	v_fma_f16 v50, v21, 0xb9e0, -v50
	v_fmamk_f16 v21, v25, 0x3574, v26
	v_fmamk_f16 v23, v40, 0x3a52, v36
	;; [unrolled: 1-line block ×4, first 2 shown]
	v_fma_f16 v17, v25, 0xb574, -v17
	v_fma_f16 v25, v30, 0xb9e0, -v28
	;; [unrolled: 1-line block ×6, first 2 shown]
	v_fmamk_f16 v29, v18, 0x3574, v34
	v_fmamk_f16 v22, v22, 0xbcab, v37
	v_add_f16_e32 v7, v7, v8
	v_fmac_f16_e32 v51, 0x370e, v19
	v_fma_f16 v18, v18, 0xb574, -v52
	v_fmac_f16_e32 v11, 0x370e, v19
	v_fma_f16 v24, v24, 0x3b00, -v34
	v_fmac_f16_e32 v15, 0x370e, v19
	v_fmamk_f16 v19, v31, 0xbcab, v38
	v_fmamk_f16 v14, v14, 0xbcab, v6
	v_fma_f16 v16, v16, 0x39e0, -v42
	v_fma_f16 v30, v30, 0x39e0, -v36
	v_fmamk_f16 v36, v39, 0x3a52, v49
	v_fma_f16 v39, v9, 0xb9e0, -v46
	v_fma_f16 v9, v9, 0x39e0, -v49
	v_fmac_f16_e32 v21, 0x370e, v27
	v_fmac_f16_e32 v43, 0x370e, v10
	;; [unrolled: 1-line block ×7, first 2 shown]
	v_add_f16_e32 v10, v35, v22
	v_fmamk_f16 v8, v8, 0xbcab, v7
	v_fmac_f16_e32 v18, 0x370e, v20
	v_add_f16_e32 v27, v50, v22
	v_add_f16_e32 v12, v12, v22
	v_fmac_f16_e32 v24, 0x370e, v20
	v_add_f16_e32 v20, v23, v19
	v_add_f16_e32 v22, v40, v14
	;; [unrolled: 1-line block ×6, first 2 shown]
	v_pack_b32_f16 v6, v6, v38
	v_add_f16_e32 v16, v36, v8
	v_add_f16_e32 v28, v18, v27
	;; [unrolled: 1-line block ×3, first 2 shown]
	v_sub_f16_e32 v31, v12, v24
	v_add_f16_e32 v8, v9, v8
	v_add_f16_e32 v9, v24, v12
	v_sub_f16_e32 v12, v27, v18
	v_add_f16_e32 v18, v21, v20
	v_sub_f16_e32 v20, v20, v21
	v_add_f16_e32 v21, v43, v22
	v_add_f16_e32 v27, v17, v23
	;; [unrolled: 1-line block ×3, first 2 shown]
	v_sub_f16_e32 v13, v14, v13
	v_sub_f16_e32 v14, v23, v17
	v_add_f16_e32 v17, v41, v25
	v_sub_f16_e32 v34, v19, v26
	v_add_f16_e32 v19, v26, v19
	global_store_dword v[2:3], v6, off
	v_pack_b32_f16 v6, v7, v37
	v_add_f16_e32 v7, v29, v10
	v_sub_f16_e32 v10, v10, v29
	v_sub_f16_e32 v29, v25, v41
	;; [unrolled: 1-line block ×4, first 2 shown]
	v_add_f16_e32 v25, v15, v8
	v_sub_f16_e32 v8, v8, v15
	v_add_f16_e32 v15, v51, v16
	v_pack_b32_f16 v16, v21, v20
	v_sub_f16_e32 v23, v30, v11
	v_add_f16_e32 v11, v11, v30
	v_pack_b32_f16 v14, v17, v14
	v_pack_b32_f16 v13, v13, v19
	;; [unrolled: 1-line block ×5, first 2 shown]
	global_store_dword v[2:3], v16, off offset:448
	global_store_dword v[2:3], v14, off offset:896
	;; [unrolled: 1-line block ×7, first 2 shown]
	v_pack_b32_f16 v2, v15, v10
	v_pack_b32_f16 v3, v11, v12
	v_pack_b32_f16 v4, v8, v9
	v_pack_b32_f16 v5, v25, v31
	v_pack_b32_f16 v6, v23, v28
	v_pack_b32_f16 v7, v22, v7
	global_store_dword v[0:1], v2, off offset:672
	global_store_dword v[0:1], v3, off offset:1120
	;; [unrolled: 1-line block ×6, first 2 shown]
.LBB0_13:
	s_endpgm
	.section	.rodata,"a",@progbits
	.p2align	6, 0x0
	.amdhsa_kernel fft_rtc_fwd_len784_factors_2_2_2_2_7_7_wgs_56_tpt_56_halfLds_half_ip_CI_unitstride_sbrr_dirReg
		.amdhsa_group_segment_fixed_size 0
		.amdhsa_private_segment_fixed_size 0
		.amdhsa_kernarg_size 88
		.amdhsa_user_sgpr_count 6
		.amdhsa_user_sgpr_private_segment_buffer 1
		.amdhsa_user_sgpr_dispatch_ptr 0
		.amdhsa_user_sgpr_queue_ptr 0
		.amdhsa_user_sgpr_kernarg_segment_ptr 1
		.amdhsa_user_sgpr_dispatch_id 0
		.amdhsa_user_sgpr_flat_scratch_init 0
		.amdhsa_user_sgpr_private_segment_size 0
		.amdhsa_wavefront_size32 1
		.amdhsa_uses_dynamic_stack 0
		.amdhsa_system_sgpr_private_segment_wavefront_offset 0
		.amdhsa_system_sgpr_workgroup_id_x 1
		.amdhsa_system_sgpr_workgroup_id_y 0
		.amdhsa_system_sgpr_workgroup_id_z 0
		.amdhsa_system_sgpr_workgroup_info 0
		.amdhsa_system_vgpr_workitem_id 0
		.amdhsa_next_free_vgpr 61
		.amdhsa_next_free_sgpr 21
		.amdhsa_reserve_vcc 1
		.amdhsa_reserve_flat_scratch 0
		.amdhsa_float_round_mode_32 0
		.amdhsa_float_round_mode_16_64 0
		.amdhsa_float_denorm_mode_32 3
		.amdhsa_float_denorm_mode_16_64 3
		.amdhsa_dx10_clamp 1
		.amdhsa_ieee_mode 1
		.amdhsa_fp16_overflow 0
		.amdhsa_workgroup_processor_mode 1
		.amdhsa_memory_ordered 1
		.amdhsa_forward_progress 0
		.amdhsa_shared_vgpr_count 0
		.amdhsa_exception_fp_ieee_invalid_op 0
		.amdhsa_exception_fp_denorm_src 0
		.amdhsa_exception_fp_ieee_div_zero 0
		.amdhsa_exception_fp_ieee_overflow 0
		.amdhsa_exception_fp_ieee_underflow 0
		.amdhsa_exception_fp_ieee_inexact 0
		.amdhsa_exception_int_div_zero 0
	.end_amdhsa_kernel
	.text
.Lfunc_end0:
	.size	fft_rtc_fwd_len784_factors_2_2_2_2_7_7_wgs_56_tpt_56_halfLds_half_ip_CI_unitstride_sbrr_dirReg, .Lfunc_end0-fft_rtc_fwd_len784_factors_2_2_2_2_7_7_wgs_56_tpt_56_halfLds_half_ip_CI_unitstride_sbrr_dirReg
                                        ; -- End function
	.section	.AMDGPU.csdata,"",@progbits
; Kernel info:
; codeLenInByte = 8916
; NumSgprs: 23
; NumVgprs: 61
; ScratchSize: 0
; MemoryBound: 0
; FloatMode: 240
; IeeeMode: 1
; LDSByteSize: 0 bytes/workgroup (compile time only)
; SGPRBlocks: 2
; VGPRBlocks: 7
; NumSGPRsForWavesPerEU: 23
; NumVGPRsForWavesPerEU: 61
; Occupancy: 16
; WaveLimiterHint : 1
; COMPUTE_PGM_RSRC2:SCRATCH_EN: 0
; COMPUTE_PGM_RSRC2:USER_SGPR: 6
; COMPUTE_PGM_RSRC2:TRAP_HANDLER: 0
; COMPUTE_PGM_RSRC2:TGID_X_EN: 1
; COMPUTE_PGM_RSRC2:TGID_Y_EN: 0
; COMPUTE_PGM_RSRC2:TGID_Z_EN: 0
; COMPUTE_PGM_RSRC2:TIDIG_COMP_CNT: 0
	.text
	.p2alignl 6, 3214868480
	.fill 48, 4, 3214868480
	.type	__hip_cuid_717901442463406d,@object ; @__hip_cuid_717901442463406d
	.section	.bss,"aw",@nobits
	.globl	__hip_cuid_717901442463406d
__hip_cuid_717901442463406d:
	.byte	0                               ; 0x0
	.size	__hip_cuid_717901442463406d, 1

	.ident	"AMD clang version 19.0.0git (https://github.com/RadeonOpenCompute/llvm-project roc-6.4.0 25133 c7fe45cf4b819c5991fe208aaa96edf142730f1d)"
	.section	".note.GNU-stack","",@progbits
	.addrsig
	.addrsig_sym __hip_cuid_717901442463406d
	.amdgpu_metadata
---
amdhsa.kernels:
  - .args:
      - .actual_access:  read_only
        .address_space:  global
        .offset:         0
        .size:           8
        .value_kind:     global_buffer
      - .offset:         8
        .size:           8
        .value_kind:     by_value
      - .actual_access:  read_only
        .address_space:  global
        .offset:         16
        .size:           8
        .value_kind:     global_buffer
      - .actual_access:  read_only
        .address_space:  global
        .offset:         24
        .size:           8
        .value_kind:     global_buffer
      - .offset:         32
        .size:           8
        .value_kind:     by_value
      - .actual_access:  read_only
        .address_space:  global
        .offset:         40
        .size:           8
        .value_kind:     global_buffer
      - .actual_access:  read_only
        .address_space:  global
        .offset:         48
        .size:           8
        .value_kind:     global_buffer
      - .offset:         56
        .size:           4
        .value_kind:     by_value
      - .actual_access:  read_only
        .address_space:  global
        .offset:         64
        .size:           8
        .value_kind:     global_buffer
      - .actual_access:  read_only
        .address_space:  global
        .offset:         72
        .size:           8
        .value_kind:     global_buffer
      - .address_space:  global
        .offset:         80
        .size:           8
        .value_kind:     global_buffer
    .group_segment_fixed_size: 0
    .kernarg_segment_align: 8
    .kernarg_segment_size: 88
    .language:       OpenCL C
    .language_version:
      - 2
      - 0
    .max_flat_workgroup_size: 56
    .name:           fft_rtc_fwd_len784_factors_2_2_2_2_7_7_wgs_56_tpt_56_halfLds_half_ip_CI_unitstride_sbrr_dirReg
    .private_segment_fixed_size: 0
    .sgpr_count:     23
    .sgpr_spill_count: 0
    .symbol:         fft_rtc_fwd_len784_factors_2_2_2_2_7_7_wgs_56_tpt_56_halfLds_half_ip_CI_unitstride_sbrr_dirReg.kd
    .uniform_work_group_size: 1
    .uses_dynamic_stack: false
    .vgpr_count:     61
    .vgpr_spill_count: 0
    .wavefront_size: 32
    .workgroup_processor_mode: 1
amdhsa.target:   amdgcn-amd-amdhsa--gfx1030
amdhsa.version:
  - 1
  - 2
...

	.end_amdgpu_metadata
